;; amdgpu-corpus repo=ROCm/rocFFT kind=compiled arch=gfx1201 opt=O3
	.text
	.amdgcn_target "amdgcn-amd-amdhsa--gfx1201"
	.amdhsa_code_object_version 6
	.protected	fft_rtc_back_len200_factors_2_5_10_2_wgs_200_tpt_20_dim2_sp_ip_CI_sbcc_twdbase8_2step_dirReg_intrinsicReadWrite ; -- Begin function fft_rtc_back_len200_factors_2_5_10_2_wgs_200_tpt_20_dim2_sp_ip_CI_sbcc_twdbase8_2step_dirReg_intrinsicReadWrite
	.globl	fft_rtc_back_len200_factors_2_5_10_2_wgs_200_tpt_20_dim2_sp_ip_CI_sbcc_twdbase8_2step_dirReg_intrinsicReadWrite
	.p2align	8
	.type	fft_rtc_back_len200_factors_2_5_10_2_wgs_200_tpt_20_dim2_sp_ip_CI_sbcc_twdbase8_2step_dirReg_intrinsicReadWrite,@function
fft_rtc_back_len200_factors_2_5_10_2_wgs_200_tpt_20_dim2_sp_ip_CI_sbcc_twdbase8_2step_dirReg_intrinsicReadWrite: ; @fft_rtc_back_len200_factors_2_5_10_2_wgs_200_tpt_20_dim2_sp_ip_CI_sbcc_twdbase8_2step_dirReg_intrinsicReadWrite
; %bb.0:
	s_load_b128 s[4:7], s[0:1], 0x10
	s_mov_b32 s11, 0
	s_mov_b32 s2, 0x99986000
	s_movk_i32 s3, 0x59
	s_mov_b32 s10, s11
	s_delay_alu instid0(SALU_CYCLE_1) | instskip(NEXT) | instid1(SALU_CYCLE_1)
	s_add_nc_u64 s[2:3], s[10:11], s[2:3]
	s_add_co_i32 s3, s3, 0x19999940
	s_delay_alu instid0(SALU_CYCLE_1) | instskip(NEXT) | instid1(SALU_CYCLE_1)
	s_mul_u64 s[12:13], s[2:3], -10
	s_mul_hi_u32 s10, s2, s12
	s_mul_i32 s15, s3, s12
	s_mul_hi_u32 s14, s3, s12
	s_mul_hi_u32 s16, s3, s13
	s_mul_i32 s12, s3, s13
	s_wait_kmcnt 0x0
	s_load_b64 s[8:9], s[4:5], 0x8
	s_mul_hi_u32 s5, s2, s13
	s_mul_i32 s4, s2, s13
	s_delay_alu instid0(SALU_CYCLE_1) | instskip(NEXT) | instid1(SALU_CYCLE_1)
	s_add_nc_u64 s[4:5], s[10:11], s[4:5]
	s_add_co_u32 s4, s4, s15
	s_add_co_ci_u32 s10, s5, s14
	s_add_co_ci_u32 s13, s16, 0
	s_delay_alu instid0(SALU_CYCLE_1) | instskip(NEXT) | instid1(SALU_CYCLE_1)
	s_add_nc_u64 s[4:5], s[10:11], s[12:13]
	v_add_co_u32 v1, s2, s2, s4
	s_delay_alu instid0(VALU_DEP_1) | instskip(SKIP_1) | instid1(VALU_DEP_1)
	s_cmp_lg_u32 s2, 0
	s_add_co_ci_u32 s12, s3, s5
	v_readfirstlane_b32 s13, v1
	s_wait_kmcnt 0x0
	s_add_nc_u64 s[2:3], s[8:9], -1
	s_wait_alu 0xfffe
	s_mul_hi_u32 s5, s2, s12
	s_mul_i32 s4, s2, s12
	s_mul_hi_u32 s10, s2, s13
	s_mul_hi_u32 s15, s3, s13
	s_mul_i32 s13, s3, s13
	s_wait_alu 0xfffe
	s_add_nc_u64 s[4:5], s[10:11], s[4:5]
	s_mul_hi_u32 s14, s3, s12
	s_wait_alu 0xfffe
	s_add_co_u32 s4, s4, s13
	s_add_co_ci_u32 s10, s5, s15
	s_mul_i32 s12, s3, s12
	s_add_co_ci_u32 s13, s14, 0
	s_delay_alu instid0(SALU_CYCLE_1) | instskip(NEXT) | instid1(SALU_CYCLE_1)
	s_add_nc_u64 s[12:13], s[10:11], s[12:13]
	s_mul_u64 s[4:5], s[12:13], 10
	s_wait_alu 0xfffe
	v_sub_co_u32 v1, s2, s2, s4
	s_delay_alu instid0(VALU_DEP_1) | instskip(SKIP_1) | instid1(VALU_DEP_1)
	s_cmp_lg_u32 s2, 0
	s_sub_co_ci_u32 s10, s3, s5
	v_sub_co_u32 v2, s4, v1, 10
	s_delay_alu instid0(VALU_DEP_1) | instskip(SKIP_2) | instid1(VALU_DEP_2)
	s_cmp_lg_u32 s4, 0
	v_readfirstlane_b32 s15, v1
	s_sub_co_ci_u32 s4, s10, 0
	v_readfirstlane_b32 s2, v2
	s_delay_alu instid0(VALU_DEP_1)
	s_cmp_gt_u32 s2, 9
	s_add_nc_u64 s[2:3], s[12:13], 1
	s_cselect_b32 s14, -1, 0
	s_wait_alu 0xfffe
	s_cmp_eq_u32 s4, 0
	s_add_nc_u64 s[4:5], s[12:13], 2
	s_cselect_b32 s14, s14, -1
	s_delay_alu instid0(SALU_CYCLE_1)
	s_cmp_lg_u32 s14, 0
	s_wait_alu 0xfffe
	s_cselect_b32 s14, s4, s2
	s_cselect_b32 s16, s5, s3
	s_cmp_gt_u32 s15, 9
	s_load_b64 s[2:3], s[0:1], 0x50
	s_cselect_b32 s4, -1, 0
	s_cmp_eq_u32 s10, 0
	s_wait_alu 0xfffe
	s_cselect_b32 s10, s4, -1
	s_load_b64 s[4:5], s[6:7], 0x0
	s_cmp_lg_u32 s10, 0
	s_mov_b32 s10, ttmp9
	s_cselect_b32 s13, s16, s13
	s_cselect_b32 s12, s14, s12
	s_mov_b64 s[14:15], 0
	s_add_nc_u64 s[12:13], s[12:13], 1
	s_wait_kmcnt 0x0
	v_cmp_lt_u64_e64 s5, s[10:11], s[12:13]
	s_delay_alu instid0(VALU_DEP_1)
	s_and_b32 vcc_lo, exec_lo, s5
	s_cbranch_vccnz .LBB0_2
; %bb.1:
	v_cvt_f32_u32_e32 v1, s12
	s_sub_co_i32 s14, 0, s12
	s_delay_alu instid0(VALU_DEP_1) | instskip(NEXT) | instid1(TRANS32_DEP_1)
	v_rcp_iflag_f32_e32 v1, v1
	v_mul_f32_e32 v1, 0x4f7ffffe, v1
	s_delay_alu instid0(VALU_DEP_1) | instskip(NEXT) | instid1(VALU_DEP_1)
	v_cvt_u32_f32_e32 v1, v1
	v_readfirstlane_b32 s5, v1
	s_delay_alu instid0(VALU_DEP_1) | instskip(NEXT) | instid1(SALU_CYCLE_1)
	s_mul_i32 s14, s14, s5
	s_mul_hi_u32 s14, s5, s14
	s_delay_alu instid0(SALU_CYCLE_1)
	s_add_co_i32 s5, s5, s14
	s_wait_alu 0xfffe
	s_mul_hi_u32 s5, s10, s5
	s_wait_alu 0xfffe
	s_mul_i32 s14, s5, s12
	s_add_co_i32 s15, s5, 1
	s_sub_co_i32 s14, s10, s14
	s_delay_alu instid0(SALU_CYCLE_1)
	s_sub_co_i32 s16, s14, s12
	s_cmp_ge_u32 s14, s12
	s_cselect_b32 s5, s15, s5
	s_cselect_b32 s14, s16, s14
	s_wait_alu 0xfffe
	s_add_co_i32 s15, s5, 1
	s_cmp_ge_u32 s14, s12
	s_cselect_b32 s14, s15, s5
	s_mov_b32 s15, s11
.LBB0_2:
	v_mul_u32_u24_e32 v1, 0x199a, v0
	s_load_b128 s[16:19], s[6:7], 0x8
	s_mul_u64 s[6:7], s[14:15], s[12:13]
	v_mov_b32_e32 v6, 0
	s_sub_nc_u64 s[6:7], s[10:11], s[6:7]
	v_lshrrev_b32_e32 v26, 16, v1
	s_mul_u64 s[6:7], s[6:7], 10
	s_delay_alu instid0(SALU_CYCLE_1) | instskip(SKIP_3) | instid1(VALU_DEP_1)
	s_add_nc_u64 s[10:11], s[6:7], 10
	s_wait_alu 0xfffe
	v_cmp_le_u64_e64 s5, s[10:11], s[8:9]
	v_mul_lo_u16 v1, v26, 10
	v_sub_nc_u16 v1, v0, v1
	s_delay_alu instid0(VALU_DEP_1) | instskip(SKIP_1) | instid1(VALU_DEP_1)
	v_and_b32_e32 v28, 0xffff, v1
	s_wait_kmcnt 0x0
	v_mad_co_u64_u32 v[1:2], null, s16, v28, 0
	s_delay_alu instid0(VALU_DEP_1)
	v_mov_b32_e32 v4, v2
	v_add_co_u32 v2, s10, s6, v28
	s_wait_alu 0xf1ff
	v_add_co_ci_u32_e64 v3, null, s7, 0, s10
	s_mul_u64 s[6:7], s[6:7], s[16:17]
	s_mul_u64 s[10:11], s[18:19], s[14:15]
	s_delay_alu instid0(VALU_DEP_1)
	v_cmp_gt_u64_e32 vcc_lo, s[8:9], v[2:3]
	v_mov_b32_e32 v3, 0
	v_mad_co_u64_u32 v[4:5], null, s17, v28, v[4:5]
	v_mov_b32_e32 v4, 0
	s_wait_alu 0xfffe
	s_add_nc_u64 s[6:7], s[10:11], s[6:7]
	s_or_b32 s5, s5, vcc_lo
	s_wait_alu 0xfffe
	s_and_saveexec_b32 s7, s5
	s_cbranch_execz .LBB0_4
; %bb.3:
	v_mul_lo_u32 v3, s4, v26
	v_mov_b32_e32 v4, 0
	s_delay_alu instid0(VALU_DEP_2) | instskip(NEXT) | instid1(VALU_DEP_1)
	v_add3_u32 v3, s6, v1, v3
	v_lshlrev_b64_e32 v[3:4], 3, v[3:4]
	s_delay_alu instid0(VALU_DEP_1) | instskip(NEXT) | instid1(VALU_DEP_2)
	v_add_co_u32 v3, vcc_lo, s2, v3
	v_add_co_ci_u32_e32 v4, vcc_lo, s3, v4, vcc_lo
	global_load_b64 v[3:4], v[3:4], off
.LBB0_4:
	s_wait_alu 0xfffe
	s_or_b32 exec_lo, exec_lo, s7
	v_mov_b32_e32 v5, 0
	s_and_saveexec_b32 s7, s5
	s_cbranch_execz .LBB0_6
; %bb.5:
	v_dual_mov_b32 v6, 0 :: v_dual_add_nc_u32 v5, 0x64, v26
	s_delay_alu instid0(VALU_DEP_1) | instskip(NEXT) | instid1(VALU_DEP_1)
	v_mul_lo_u32 v5, s4, v5
	v_add3_u32 v5, s6, v1, v5
	s_delay_alu instid0(VALU_DEP_1) | instskip(NEXT) | instid1(VALU_DEP_1)
	v_lshlrev_b64_e32 v[5:6], 3, v[5:6]
	v_add_co_u32 v5, vcc_lo, s2, v5
	s_wait_alu 0xfffd
	s_delay_alu instid0(VALU_DEP_2)
	v_add_co_ci_u32_e32 v6, vcc_lo, s3, v6, vcc_lo
	global_load_b64 v[5:6], v[5:6], off
.LBB0_6:
	s_wait_alu 0xfffe
	s_or_b32 exec_lo, exec_lo, s7
	v_dual_mov_b32 v10, 0 :: v_dual_add_nc_u32 v23, 20, v26
	v_dual_mov_b32 v8, 0 :: v_dual_mov_b32 v7, 0
	s_and_saveexec_b32 s7, s5
	s_cbranch_execz .LBB0_8
; %bb.7:
	s_delay_alu instid0(VALU_DEP_2) | instskip(SKIP_1) | instid1(VALU_DEP_2)
	v_mul_lo_u32 v7, s4, v23
	v_mov_b32_e32 v8, 0
	v_add3_u32 v7, s6, v1, v7
	s_delay_alu instid0(VALU_DEP_1) | instskip(NEXT) | instid1(VALU_DEP_1)
	v_lshlrev_b64_e32 v[7:8], 3, v[7:8]
	v_add_co_u32 v7, vcc_lo, s2, v7
	s_wait_alu 0xfffd
	s_delay_alu instid0(VALU_DEP_2)
	v_add_co_ci_u32_e32 v8, vcc_lo, s3, v8, vcc_lo
	global_load_b64 v[7:8], v[7:8], off
.LBB0_8:
	s_wait_alu 0xfffe
	s_or_b32 exec_lo, exec_lo, s7
	v_mov_b32_e32 v9, 0
	s_and_saveexec_b32 s7, s5
	s_cbranch_execz .LBB0_10
; %bb.9:
	v_dual_mov_b32 v10, 0 :: v_dual_add_nc_u32 v9, 0x78, v26
	s_delay_alu instid0(VALU_DEP_1) | instskip(NEXT) | instid1(VALU_DEP_1)
	v_mul_lo_u32 v9, s4, v9
	v_add3_u32 v9, s6, v1, v9
	s_delay_alu instid0(VALU_DEP_1) | instskip(NEXT) | instid1(VALU_DEP_1)
	v_lshlrev_b64_e32 v[9:10], 3, v[9:10]
	v_add_co_u32 v9, vcc_lo, s2, v9
	s_wait_alu 0xfffd
	s_delay_alu instid0(VALU_DEP_2)
	v_add_co_ci_u32_e32 v10, vcc_lo, s3, v10, vcc_lo
	global_load_b64 v[9:10], v[9:10], off
.LBB0_10:
	s_wait_alu 0xfffe
	s_or_b32 exec_lo, exec_lo, s7
	v_dual_mov_b32 v11, 0 :: v_dual_add_nc_u32 v24, 40, v26
	v_mov_b32_e32 v14, 0
	v_mov_b32_e32 v12, 0
	s_and_saveexec_b32 s7, s5
	s_cbranch_execz .LBB0_12
; %bb.11:
	v_mul_lo_u32 v11, s4, v24
	v_mov_b32_e32 v12, 0
	s_delay_alu instid0(VALU_DEP_2) | instskip(NEXT) | instid1(VALU_DEP_1)
	v_add3_u32 v11, s6, v1, v11
	v_lshlrev_b64_e32 v[11:12], 3, v[11:12]
	s_delay_alu instid0(VALU_DEP_1) | instskip(SKIP_1) | instid1(VALU_DEP_2)
	v_add_co_u32 v11, vcc_lo, s2, v11
	s_wait_alu 0xfffd
	v_add_co_ci_u32_e32 v12, vcc_lo, s3, v12, vcc_lo
	global_load_b64 v[11:12], v[11:12], off
.LBB0_12:
	s_wait_alu 0xfffe
	s_or_b32 exec_lo, exec_lo, s7
	v_mov_b32_e32 v13, 0
	s_and_saveexec_b32 s7, s5
	s_cbranch_execz .LBB0_14
; %bb.13:
	v_dual_mov_b32 v14, 0 :: v_dual_add_nc_u32 v13, 0x8c, v26
	s_delay_alu instid0(VALU_DEP_1) | instskip(NEXT) | instid1(VALU_DEP_1)
	v_mul_lo_u32 v13, s4, v13
	v_add3_u32 v13, s6, v1, v13
	s_delay_alu instid0(VALU_DEP_1) | instskip(NEXT) | instid1(VALU_DEP_1)
	v_lshlrev_b64_e32 v[13:14], 3, v[13:14]
	v_add_co_u32 v13, vcc_lo, s2, v13
	s_wait_alu 0xfffd
	s_delay_alu instid0(VALU_DEP_2)
	v_add_co_ci_u32_e32 v14, vcc_lo, s3, v14, vcc_lo
	global_load_b64 v[13:14], v[13:14], off
.LBB0_14:
	s_wait_alu 0xfffe
	s_or_b32 exec_lo, exec_lo, s7
	v_dual_mov_b32 v18, 0 :: v_dual_add_nc_u32 v25, 60, v26
	v_dual_mov_b32 v16, 0 :: v_dual_mov_b32 v15, 0
	s_and_saveexec_b32 s7, s5
	s_cbranch_execz .LBB0_16
; %bb.15:
	s_delay_alu instid0(VALU_DEP_2) | instskip(SKIP_1) | instid1(VALU_DEP_2)
	v_mul_lo_u32 v15, s4, v25
	v_mov_b32_e32 v16, 0
	v_add3_u32 v15, s6, v1, v15
	s_delay_alu instid0(VALU_DEP_1) | instskip(NEXT) | instid1(VALU_DEP_1)
	v_lshlrev_b64_e32 v[15:16], 3, v[15:16]
	v_add_co_u32 v15, vcc_lo, s2, v15
	s_wait_alu 0xfffd
	s_delay_alu instid0(VALU_DEP_2)
	v_add_co_ci_u32_e32 v16, vcc_lo, s3, v16, vcc_lo
	global_load_b64 v[15:16], v[15:16], off
.LBB0_16:
	s_wait_alu 0xfffe
	s_or_b32 exec_lo, exec_lo, s7
	v_mov_b32_e32 v17, 0
	s_and_saveexec_b32 s7, s5
	s_cbranch_execz .LBB0_18
; %bb.17:
	v_or_b32_e32 v17, 0xa0, v26
	v_mov_b32_e32 v18, 0
	s_delay_alu instid0(VALU_DEP_2) | instskip(NEXT) | instid1(VALU_DEP_1)
	v_mul_lo_u32 v17, s4, v17
	v_add3_u32 v17, s6, v1, v17
	s_delay_alu instid0(VALU_DEP_1) | instskip(NEXT) | instid1(VALU_DEP_1)
	v_lshlrev_b64_e32 v[17:18], 3, v[17:18]
	v_add_co_u32 v17, vcc_lo, s2, v17
	s_wait_alu 0xfffd
	s_delay_alu instid0(VALU_DEP_2)
	v_add_co_ci_u32_e32 v18, vcc_lo, s3, v18, vcc_lo
	global_load_b64 v[17:18], v[17:18], off
.LBB0_18:
	s_wait_alu 0xfffe
	s_or_b32 exec_lo, exec_lo, s7
	s_load_b64 s[8:9], s[0:1], 0x0
	v_dual_mov_b32 v22, 0 :: v_dual_add_nc_u32 v27, 0x50, v26
	v_dual_mov_b32 v20, 0 :: v_dual_mov_b32 v19, 0
	s_and_saveexec_b32 s7, s5
	s_cbranch_execz .LBB0_20
; %bb.19:
	s_delay_alu instid0(VALU_DEP_2) | instskip(SKIP_1) | instid1(VALU_DEP_2)
	v_mul_lo_u32 v19, s4, v27
	v_mov_b32_e32 v20, 0
	v_add3_u32 v19, s6, v1, v19
	s_delay_alu instid0(VALU_DEP_1) | instskip(NEXT) | instid1(VALU_DEP_1)
	v_lshlrev_b64_e32 v[19:20], 3, v[19:20]
	v_add_co_u32 v19, vcc_lo, s2, v19
	s_wait_alu 0xfffd
	s_delay_alu instid0(VALU_DEP_2)
	v_add_co_ci_u32_e32 v20, vcc_lo, s3, v20, vcc_lo
	global_load_b64 v[19:20], v[19:20], off
.LBB0_20:
	s_wait_alu 0xfffe
	s_or_b32 exec_lo, exec_lo, s7
	v_mov_b32_e32 v21, 0
	s_and_saveexec_b32 s7, s5
	s_cbranch_execz .LBB0_22
; %bb.21:
	v_dual_mov_b32 v22, 0 :: v_dual_add_nc_u32 v21, 0xb4, v26
	s_delay_alu instid0(VALU_DEP_1) | instskip(NEXT) | instid1(VALU_DEP_1)
	v_mul_lo_u32 v21, s4, v21
	v_add3_u32 v21, s6, v1, v21
	s_delay_alu instid0(VALU_DEP_1) | instskip(NEXT) | instid1(VALU_DEP_1)
	v_lshlrev_b64_e32 v[21:22], 3, v[21:22]
	v_add_co_u32 v21, vcc_lo, s2, v21
	s_wait_alu 0xfffd
	s_delay_alu instid0(VALU_DEP_2)
	v_add_co_ci_u32_e32 v22, vcc_lo, s3, v22, vcc_lo
	global_load_b64 v[21:22], v[21:22], off
.LBB0_22:
	s_wait_alu 0xfffe
	s_or_b32 exec_lo, exec_lo, s7
	s_wait_loadcnt 0x0
	v_dual_sub_f32 v9, v7, v9 :: v_dual_sub_f32 v10, v8, v10
	v_dual_sub_f32 v5, v3, v5 :: v_dual_sub_f32 v6, v4, v6
	;; [unrolled: 1-line block ×3, first 2 shown]
	s_delay_alu instid0(VALU_DEP_3) | instskip(NEXT) | instid1(VALU_DEP_4)
	v_fma_f32 v29, v7, 2.0, -v9
	v_fma_f32 v30, v8, 2.0, -v10
	v_mul_u32_u24_e32 v8, 0xa0, v26
	v_dual_sub_f32 v18, v16, v18 :: v_dual_lshlrev_b32 v7, 3, v28
	v_fma_f32 v3, v3, 2.0, -v5
	v_fma_f32 v4, v4, 2.0, -v6
	;; [unrolled: 1-line block ×3, first 2 shown]
	s_delay_alu instid0(VALU_DEP_4) | instskip(SKIP_3) | instid1(VALU_DEP_4)
	v_add3_u32 v28, 0, v8, v7
	v_sub_f32_e32 v17, v15, v17
	v_dual_sub_f32 v8, v19, v21 :: v_dual_sub_f32 v21, v20, v22
	v_fma_f32 v12, v12, 2.0, -v14
	v_add_nc_u32_e32 v22, 0x800, v28
	s_delay_alu instid0(VALU_DEP_4)
	v_fma_f32 v15, v15, 2.0, -v17
	v_fma_f32 v16, v16, 2.0, -v18
	v_add_nc_u32_e32 v31, 0x1800, v28
	ds_store_2addr_b64 v28, v[3:4], v[5:6] offset1:10
	ds_store_2addr_b64 v22, v[29:30], v[9:10] offset0:144 offset1:154
	v_and_b32_e32 v6, 1, v26
	v_add_nc_u32_e32 v3, 0x2400, v28
	v_fma_f32 v19, v19, 2.0, -v8
	v_fma_f32 v20, v20, 2.0, -v21
	v_add_nc_u32_e32 v4, 0x3000, v28
	ds_store_2addr_b64 v31, v[11:12], v[13:14] offset0:32 offset1:42
	ds_store_b64 v28, v[15:16] offset:9600
	ds_store_2addr_b32 v3, v17, v18 offset0:116 offset1:117
	ds_store_2addr_b32 v4, v19, v20 offset0:128 offset1:129
	ds_store_2addr_b32 v4, v8, v21 offset0:148 offset1:149
	v_lshlrev_b32_e32 v3, 5, v6
	global_wb scope:SCOPE_SE
	s_wait_dscnt 0x0
	s_wait_kmcnt 0x0
	s_barrier_signal -1
	s_barrier_wait -1
	global_inv scope:SCOPE_SE
	s_clause 0x1
	global_load_b128 v[8:11], v3, s[8:9]
	global_load_b128 v[12:15], v3, s[8:9] offset:16
	v_lshrrev_b32_e32 v3, 1, v26
	v_mul_lo_u16 v5, v26, 26
	v_mul_i32_i24_e32 v16, 0xffffffb0, v24
	v_lshrrev_b32_e32 v4, 1, v23
	s_delay_alu instid0(VALU_DEP_4) | instskip(NEXT) | instid1(VALU_DEP_4)
	v_mul_u32_u24_e32 v17, 10, v3
	v_lshrrev_b16 v22, 8, v5
	v_mad_i32_i24 v3, 0xffffffb0, v26, v28
	v_add3_u32 v5, 0x1900, v28, v16
	v_mul_u32_u24_e32 v4, 10, v4
	s_delay_alu instid0(VALU_DEP_4)
	v_mul_lo_u16 v16, v22, 10
	ds_load_b64 v[20:21], v3
	ds_load_b64 v[32:33], v5
	ds_load_b64 v[34:35], v3 offset:4800
	v_add_nc_u32_e32 v38, 0x1c00, v3
	v_add_nc_u32_e32 v29, 0x3200, v3
	v_sub_nc_u16 v39, v26, v16
	s_delay_alu instid0(VALU_DEP_1)
	v_and_b32_e32 v42, 0xff, v39
	ds_load_2addr_b32 v[38:39], v38 offset0:208 offset1:209
	s_wait_loadcnt_dscnt 0x100
	v_dual_mul_f32 v55, v39, v11 :: v_dual_add_nc_u32 v18, 0x3200, v28
	v_mul_f32_e32 v47, v9, v32
	v_or_b32_e32 v28, v17, v6
	v_or_b32_e32 v4, v4, v6
	s_delay_alu instid0(VALU_DEP_4)
	v_mad_i32_i24 v6, 0xffffffb0, v27, v18
	v_mul_f32_e32 v46, v9, v33
	v_mul_f32_e32 v54, v9, v35
	v_mul_u32_u24_e32 v40, 0x50, v28
	ds_load_2addr_b64 v[28:31], v29 offset1:200
	v_add_nc_u32_e32 v17, 0x2400, v3
	ds_load_b64 v[36:37], v6
	v_mul_u32_u24_e32 v41, 0x50, v4
	v_add3_u32 v43, 0, v40, v7
	v_dual_mul_f32 v9, v9, v34 :: v_dual_fmac_f32 v46, v8, v32
	v_fma_f32 v32, v8, v33, -v47
	s_delay_alu instid0(VALU_DEP_4) | instskip(SKIP_1) | instid1(VALU_DEP_4)
	v_add3_u32 v44, 0, v41, v7
	v_fmac_f32_e32 v54, v8, v34
	v_fma_f32 v8, v8, v35, -v9
	s_wait_loadcnt_dscnt 0x1
	v_dual_add_f32 v9, v20, v46 :: v_dual_mul_f32 v52, v15, v29
	ds_load_2addr_b64 v[16:19], v17 offset0:48 offset1:248
	v_dual_mul_f32 v53, v15, v28 :: v_dual_add_nc_u32 v4, 0xffffed40, v6
	v_mul_u32_u24_e32 v45, 9, v42
	s_wait_dscnt 0x1
	v_mul_f32_e32 v48, v11, v37
	v_mul_f32_e32 v49, v11, v36
	;; [unrolled: 1-line block ×4, first 2 shown]
	v_lshlrev_b32_e32 v45, 3, v45
	v_mul_f32_e32 v15, v30, v15
	v_fmac_f32_e32 v48, v10, v36
	v_fma_f32 v33, v10, v37, -v49
	v_fmac_f32_e32 v52, v14, v28
	v_fma_f32 v29, v14, v29, -v53
	;; [unrolled: 2-line block ×3, first 2 shown]
	v_fma_f32 v31, v31, v14, -v15
	v_sub_f32_e32 v15, v48, v46
	v_add_f32_e32 v39, v32, v29
	v_sub_f32_e32 v37, v32, v33
	s_wait_dscnt 0x0
	v_mul_f32_e32 v51, v13, v16
	ds_load_2addr_b32 v[40:41], v4 offset1:1
	v_mul_f32_e32 v50, v13, v17
	v_mul_f32_e32 v56, v19, v13
	v_dual_mul_f32 v13, v18, v13 :: v_dual_add_f32 v68, v8, v31
	v_sub_f32_e32 v69, v11, v8
	s_delay_alu instid0(VALU_DEP_4)
	v_fmac_f32_e32 v50, v12, v16
	v_fma_f32 v16, v12, v17, -v51
	v_fmac_f32_e32 v56, v18, v12
	v_fma_f32 v17, v19, v12, -v13
	v_fmac_f32_e32 v57, v30, v14
	v_dual_add_f32 v10, v48, v50 :: v_dual_add_f32 v19, v21, v32
	v_dual_sub_f32 v12, v46, v48 :: v_dual_sub_f32 v13, v52, v50
	v_add_f32_e32 v28, v33, v16
	v_add_f32_e32 v14, v46, v52
	v_sub_f32_e32 v18, v50, v52
	v_sub_f32_e32 v30, v32, v29
	;; [unrolled: 1-line block ×3, first 2 shown]
	v_dual_sub_f32 v35, v46, v52 :: v_dual_sub_f32 v36, v48, v50
	v_dual_sub_f32 v38, v29, v16 :: v_dual_sub_f32 v51, v8, v31
	v_dual_sub_f32 v46, v16, v29 :: v_dual_add_f32 v49, v55, v56
	s_wait_dscnt 0x0
	v_dual_add_f32 v47, v40, v54 :: v_dual_add_f32 v60, v54, v57
	v_dual_sub_f32 v61, v55, v54 :: v_dual_sub_f32 v62, v56, v57
	v_dual_add_f32 v63, v41, v8 :: v_dual_add_f32 v64, v11, v17
	v_dual_sub_f32 v66, v8, v11 :: v_dual_sub_f32 v67, v31, v17
	v_dual_sub_f32 v70, v17, v31 :: v_dual_add_f32 v71, v12, v13
	v_dual_add_f32 v48, v9, v48 :: v_dual_add_f32 v13, v19, v33
	v_fma_f32 v8, -0.5, v10, v20
	v_fma_f32 v9, -0.5, v28, v21
	;; [unrolled: 1-line block ×3, first 2 shown]
	v_dual_add_f32 v72, v15, v18 :: v_dual_fmac_f32 v21, -0.5, v39
	v_dual_sub_f32 v32, v33, v32 :: v_dual_sub_f32 v53, v11, v17
	v_dual_sub_f32 v58, v54, v55 :: v_dual_sub_f32 v59, v57, v56
	;; [unrolled: 1-line block ×3, first 2 shown]
	v_dual_add_f32 v33, v37, v38 :: v_dual_add_f32 v18, v47, v55
	v_fma_f32 v10, -0.5, v49, v40
	v_fma_f32 v40, -0.5, v60, v40
	v_dual_add_f32 v38, v61, v62 :: v_dual_add_f32 v19, v63, v11
	v_fma_f32 v11, -0.5, v64, v41
	v_dual_fmac_f32 v41, -0.5, v68 :: v_dual_add_f32 v28, v48, v50
	v_dual_add_f32 v47, v13, v16 :: v_dual_fmamk_f32 v12, v30, 0xbf737871, v8
	v_dual_fmac_f32 v8, 0x3f737871, v30 :: v_dual_fmamk_f32 v13, v35, 0x3f737871, v9
	v_fmamk_f32 v14, v34, 0x3f737871, v20
	v_dual_fmac_f32 v20, 0xbf737871, v34 :: v_dual_fmamk_f32 v15, v36, 0xbf737871, v21
	v_fmac_f32_e32 v21, 0x3f737871, v36
	v_dual_fmac_f32 v9, 0xbf737871, v35 :: v_dual_add_f32 v48, v18, v56
	v_add_f32_e32 v49, v19, v17
	v_fmamk_f32 v16, v51, 0xbf737871, v10
	v_dual_fmac_f32 v10, 0x3f737871, v51 :: v_dual_fmamk_f32 v17, v54, 0x3f737871, v11
	v_fmamk_f32 v18, v53, 0x3f737871, v40
	v_dual_fmac_f32 v40, 0xbf737871, v53 :: v_dual_fmamk_f32 v19, v65, 0xbf737871, v41
	v_fmac_f32_e32 v11, 0xbf737871, v54
	v_fmac_f32_e32 v41, 0x3f737871, v65
	v_dual_fmac_f32 v12, 0xbf167918, v34 :: v_dual_fmac_f32 v9, 0xbf167918, v36
	v_dual_fmac_f32 v8, 0x3f167918, v34 :: v_dual_fmac_f32 v13, 0x3f167918, v36
	v_dual_add_f32 v32, v32, v46 :: v_dual_add_f32 v37, v58, v59
	v_dual_fmac_f32 v14, 0xbf167918, v30 :: v_dual_fmac_f32 v21, 0xbf167918, v35
	v_dual_fmac_f32 v20, 0x3f167918, v30 :: v_dual_fmac_f32 v15, 0x3f167918, v35
	v_dual_add_f32 v39, v66, v67 :: v_dual_add_f32 v46, v69, v70
	v_dual_fmac_f32 v16, 0xbf167918, v53 :: v_dual_fmac_f32 v41, 0xbf167918, v54
	v_dual_fmac_f32 v40, 0x3f167918, v51 :: v_dual_fmac_f32 v17, 0x3f167918, v65
	;; [unrolled: 1-line block ×4, first 2 shown]
	v_dual_add_f32 v28, v28, v52 :: v_dual_add_f32 v29, v47, v29
	v_dual_fmac_f32 v12, 0x3e9e377a, v71 :: v_dual_fmac_f32 v13, 0x3e9e377a, v33
	v_dual_fmac_f32 v14, 0x3e9e377a, v72 :: v_dual_fmac_f32 v17, 0x3e9e377a, v39
	s_delay_alu instid0(VALU_DEP_4)
	v_dual_fmac_f32 v20, 0x3e9e377a, v72 :: v_dual_fmac_f32 v11, 0x3e9e377a, v39
	v_dual_fmac_f32 v15, 0x3e9e377a, v32 :: v_dual_fmac_f32 v16, 0x3e9e377a, v37
	;; [unrolled: 1-line block ×4, first 2 shown]
	v_dual_add_f32 v30, v48, v57 :: v_dual_add_f32 v31, v49, v31
	v_fmac_f32_e32 v18, 0x3e9e377a, v38
	v_fmac_f32_e32 v40, 0x3e9e377a, v38
	;; [unrolled: 1-line block ×4, first 2 shown]
	global_wb scope:SCOPE_SE
	s_barrier_signal -1
	s_barrier_wait -1
	global_inv scope:SCOPE_SE
	ds_store_2addr_b64 v43, v[28:29], v[12:13] offset1:20
	ds_store_2addr_b64 v43, v[14:15], v[20:21] offset0:40 offset1:60
	ds_store_b64 v43, v[8:9] offset:640
	ds_store_2addr_b64 v44, v[30:31], v[16:17] offset1:20
	ds_store_2addr_b64 v44, v[18:19], v[40:41] offset0:40 offset1:60
	ds_store_b64 v44, v[10:11] offset:640
	global_wb scope:SCOPE_SE
	s_wait_dscnt 0x0
	s_barrier_signal -1
	s_barrier_wait -1
	global_inv scope:SCOPE_SE
	s_clause 0x4
	global_load_b128 v[10:13], v45, s[8:9] offset:64
	global_load_b128 v[14:17], v45, s[8:9] offset:80
	;; [unrolled: 1-line block ×4, first 2 shown]
	global_load_b64 v[40:41], v45, s[8:9] offset:128
	v_and_b32_e32 v8, 0xffff, v22
	v_mul_u32_u24_e32 v9, 0x50, v25
	ds_load_b64 v[44:45], v5
	v_mad_u32_u24 v8, 0x64, v8, v42
	ds_load_b64 v[42:43], v4
	v_add3_u32 v9, 0, v9, v7
	ds_load_b64 v[46:47], v9
	ds_load_b64 v[48:49], v6
	v_mul_u32_u24_e32 v22, 0x50, v8
	v_add_nc_u32_e32 v8, 0x1e00, v3
	s_delay_alu instid0(VALU_DEP_2) | instskip(NEXT) | instid1(VALU_DEP_1)
	v_add3_u32 v22, 0, v22, v7
	v_add_nc_u32_e32 v54, 0x400, v22
	s_wait_loadcnt_dscnt 0x402
	v_mul_f32_e32 v58, v11, v43
	v_mul_f32_e32 v11, v11, v42
	ds_load_2addr_b64 v[32:35], v8 offset0:40 offset1:240
	v_add_nc_u32_e32 v7, 0x2b00, v3
	v_mul_f32_e32 v59, v13, v45
	s_wait_loadcnt_dscnt 0x302
	v_dual_mul_f32 v13, v13, v44 :: v_dual_mul_f32 v60, v15, v47
	s_wait_dscnt 0x1
	v_mul_f32_e32 v61, v17, v49
	v_dual_mul_f32 v17, v17, v48 :: v_dual_fmac_f32 v58, v10, v42
	v_fma_f32 v42, v10, v43, -v11
	v_fma_f32 v10, v12, v45, -v13
	v_fmac_f32_e32 v60, v14, v46
	v_add_nc_u32_e32 v56, 0x1000, v22
	s_wait_loadcnt_dscnt 0x200
	v_mul_f32_e32 v62, v19, v33
	v_mul_f32_e32 v19, v19, v32
	ds_load_2addr_b64 v[36:39], v7 offset0:24 offset1:224
	ds_load_b64 v[50:51], v3
	ds_load_b64 v[52:53], v3 offset:14400
	v_add_nc_u32_e32 v55, 0x800, v22
	v_add_nc_u32_e32 v57, 0x1800, v22
	v_dual_mul_f32 v15, v15, v46 :: v_dual_fmac_f32 v62, v18, v32
	v_mul_f32_e32 v63, v35, v21
	v_fma_f32 v13, v18, v33, -v19
	global_wb scope:SCOPE_SE
	s_wait_loadcnt_dscnt 0x0
	v_fma_f32 v11, v14, v47, -v15
	v_sub_f32_e32 v46, v60, v62
	s_barrier_signal -1
	s_barrier_wait -1
	global_inv scope:SCOPE_SE
	v_sub_f32_e32 v68, v11, v13
	v_mul_f32_e32 v64, v37, v29
	v_mul_f32_e32 v21, v34, v21
	v_dual_mul_f32 v66, v53, v41 :: v_dual_mul_f32 v65, v39, v31
	v_mul_f32_e32 v29, v36, v29
	s_delay_alu instid0(VALU_DEP_4) | instskip(NEXT) | instid1(VALU_DEP_4)
	v_fmac_f32_e32 v64, v36, v28
	v_fma_f32 v14, v35, v20, -v21
	v_fmac_f32_e32 v63, v34, v20
	v_dual_fmac_f32 v66, v52, v40 :: v_dual_fmac_f32 v65, v38, v30
	v_fmac_f32_e32 v59, v12, v44
	v_fma_f32 v12, v16, v49, -v17
	v_fma_f32 v15, v37, v28, -v29
	s_delay_alu instid0(VALU_DEP_2) | instskip(SKIP_4) | instid1(VALU_DEP_3)
	v_dual_add_f32 v43, v62, v64 :: v_dual_add_f32 v34, v12, v14
	v_sub_f32_e32 v32, v63, v65
	v_dual_mul_f32 v41, v52, v41 :: v_dual_add_f32 v18, v50, v59
	v_fmac_f32_e32 v61, v16, v48
	v_dual_mul_f32 v31, v38, v31 :: v_dual_sub_f32 v52, v64, v66
	v_fma_f32 v17, v53, v40, -v41
	s_delay_alu instid0(VALU_DEP_3) | instskip(NEXT) | instid1(VALU_DEP_3)
	v_dual_sub_f32 v37, v10, v12 :: v_dual_sub_f32 v28, v59, v61
	v_fma_f32 v16, v39, v30, -v31
	v_add_f32_e32 v30, v59, v65
	s_delay_alu instid0(VALU_DEP_4) | instskip(SKIP_1) | instid1(VALU_DEP_4)
	v_dual_sub_f32 v44, v11, v17 :: v_dual_add_f32 v19, v61, v63
	v_sub_f32_e32 v36, v61, v63
	v_dual_sub_f32 v20, v10, v16 :: v_dual_sub_f32 v29, v65, v63
	v_dual_sub_f32 v38, v16, v14 :: v_dual_sub_f32 v31, v61, v59
	v_dual_add_f32 v33, v51, v10 :: v_dual_add_f32 v18, v18, v61
	v_sub_f32_e32 v35, v59, v65
	v_dual_add_f32 v39, v10, v16 :: v_dual_add_f32 v48, v60, v66
	v_dual_sub_f32 v10, v12, v10 :: v_dual_add_f32 v41, v58, v60
	v_sub_f32_e32 v49, v62, v60
	v_add_f32_e32 v53, v42, v11
	v_fma_f32 v61, -0.5, v19, v50
	v_add_f32_e32 v19, v28, v29
	v_fma_f32 v29, -0.5, v30, v50
	v_fma_f32 v50, -0.5, v34, v51
	v_dual_sub_f32 v21, v12, v14 :: v_dual_sub_f32 v40, v14, v16
	v_sub_f32_e32 v45, v13, v15
	v_dual_sub_f32 v47, v66, v64 :: v_dual_add_f32 v70, v11, v17
	s_delay_alu instid0(VALU_DEP_3)
	v_dual_add_f32 v59, v13, v15 :: v_dual_add_f32 v10, v10, v40
	v_sub_f32_e32 v69, v17, v15
	v_sub_f32_e32 v11, v13, v11
	v_dual_sub_f32 v71, v15, v17 :: v_dual_add_f32 v12, v33, v12
	v_dual_add_f32 v28, v31, v32 :: v_dual_fmac_f32 v51, -0.5, v39
	v_dual_add_f32 v31, v41, v62 :: v_dual_add_f32 v18, v18, v63
	v_add_f32_e32 v13, v53, v13
	v_fmamk_f32 v39, v20, 0xbf737871, v61
	v_fmamk_f32 v41, v35, 0x3f737871, v50
	v_fmac_f32_e32 v50, 0xbf737871, v35
	v_add_f32_e32 v18, v18, v65
	v_sub_f32_e32 v60, v60, v66
	v_add_f32_e32 v30, v37, v38
	v_fma_f32 v32, -0.5, v43, v58
	v_dual_add_f32 v33, v46, v47 :: v_dual_fmamk_f32 v40, v21, 0x3f737871, v29
	v_fmac_f32_e32 v58, -0.5, v48
	v_dual_sub_f32 v67, v62, v64 :: v_dual_add_f32 v38, v68, v69
	v_fma_f32 v37, -0.5, v59, v42
	v_fmac_f32_e32 v42, -0.5, v70
	v_add_f32_e32 v12, v12, v14
	v_fmamk_f32 v43, v36, 0xbf737871, v51
	v_fmac_f32_e32 v51, 0x3f737871, v36
	v_dual_add_f32 v14, v31, v64 :: v_dual_fmac_f32 v39, 0xbf167918, v21
	v_fmac_f32_e32 v50, 0xbf167918, v36
	v_add_f32_e32 v34, v49, v52
	v_dual_fmac_f32 v61, 0x3f737871, v20 :: v_dual_fmamk_f32 v46, v45, 0x3f737871, v58
	v_dual_fmac_f32 v29, 0xbf737871, v21 :: v_dual_add_f32 v16, v12, v16
	v_dual_fmamk_f32 v31, v44, 0xbf737871, v32 :: v_dual_add_f32 v12, v14, v66
	v_dual_fmac_f32 v58, 0xbf737871, v45 :: v_dual_add_f32 v13, v13, v15
	v_fmac_f32_e32 v40, 0xbf167918, v20
	v_fmamk_f32 v47, v67, 0xbf737871, v42
	v_fmac_f32_e32 v42, 0x3f737871, v67
	v_dual_fmac_f32 v51, 0xbf167918, v35 :: v_dual_fmac_f32 v46, 0xbf167918, v44
	v_dual_fmac_f32 v39, 0x3e9e377a, v19 :: v_dual_fmac_f32 v50, 0x3e9e377a, v30
	v_fmac_f32_e32 v43, 0x3f167918, v35
	v_dual_add_f32 v11, v11, v71 :: v_dual_fmac_f32 v32, 0x3f737871, v44
	v_fmamk_f32 v15, v60, 0x3f737871, v37
	v_fmac_f32_e32 v29, 0x3f167918, v20
	v_dual_fmac_f32 v31, 0xbf167918, v45 :: v_dual_fmac_f32 v42, 0xbf167918, v60
	v_dual_add_f32 v13, v13, v17 :: v_dual_fmac_f32 v40, 0x3e9e377a, v28
	v_fmac_f32_e32 v41, 0x3f167918, v36
	v_fmac_f32_e32 v43, 0x3e9e377a, v10
	v_dual_fmac_f32 v51, 0x3e9e377a, v10 :: v_dual_add_f32 v10, v18, v12
	v_sub_f32_e32 v12, v18, v12
	v_fmac_f32_e32 v47, 0x3f167918, v60
	v_dual_fmac_f32 v61, 0x3f167918, v21 :: v_dual_fmac_f32 v58, 0x3f167918, v44
	v_fmac_f32_e32 v32, 0x3f167918, v45
	v_dual_fmac_f32 v29, 0x3e9e377a, v28 :: v_dual_fmac_f32 v46, 0x3e9e377a, v34
	v_dual_fmac_f32 v41, 0x3e9e377a, v30 :: v_dual_fmac_f32 v42, 0x3e9e377a, v11
	v_fmac_f32_e32 v47, 0x3e9e377a, v11
	v_fmac_f32_e32 v37, 0xbf737871, v60
	v_dual_fmac_f32 v61, 0x3e9e377a, v19 :: v_dual_fmac_f32 v32, 0x3e9e377a, v33
	v_dual_fmac_f32 v31, 0x3e9e377a, v33 :: v_dual_fmac_f32 v58, 0x3e9e377a, v34
	s_delay_alu instid0(VALU_DEP_4) | instskip(NEXT) | instid1(VALU_DEP_4)
	v_mul_f32_e32 v30, 0xbf737871, v47
	v_fmac_f32_e32 v37, 0xbf167918, v67
	v_mul_f32_e32 v33, 0xbf737871, v42
	s_delay_alu instid0(VALU_DEP_3) | instskip(NEXT) | instid1(VALU_DEP_3)
	v_fmac_f32_e32 v30, 0x3e9e377a, v46
	v_fmac_f32_e32 v37, 0x3e9e377a, v38
	s_delay_alu instid0(VALU_DEP_3) | instskip(SKIP_2) | instid1(VALU_DEP_4)
	v_fmac_f32_e32 v33, 0xbe9e377a, v58
	v_fmac_f32_e32 v15, 0x3f167918, v67
	v_mul_f32_e32 v36, 0x3e9e377a, v47
	v_mul_f32_e32 v34, 0xbf167918, v37
	;; [unrolled: 1-line block ×3, first 2 shown]
	s_delay_alu instid0(VALU_DEP_4) | instskip(SKIP_1) | instid1(VALU_DEP_4)
	v_dual_add_f32 v18, v29, v33 :: v_dual_fmac_f32 v15, 0x3e9e377a, v38
	v_mul_f32_e32 v38, 0xbe9e377a, v42
	v_fmac_f32_e32 v34, 0xbf4f1bbd, v32
	s_delay_alu instid0(VALU_DEP_4) | instskip(NEXT) | instid1(VALU_DEP_4)
	v_dual_fmac_f32 v37, 0x3f167918, v32 :: v_dual_sub_f32 v32, v29, v33
	v_dual_add_f32 v11, v16, v13 :: v_dual_mul_f32 v28, 0xbf167918, v15
	v_mul_f32_e32 v35, 0x3f4f1bbd, v15
	v_dual_sub_f32 v13, v16, v13 :: v_dual_fmac_f32 v36, 0x3f737871, v46
	s_delay_alu instid0(VALU_DEP_3) | instskip(SKIP_1) | instid1(VALU_DEP_3)
	v_dual_add_f32 v21, v50, v37 :: v_dual_fmac_f32 v28, 0x3f4f1bbd, v31
	v_add_f32_e32 v20, v61, v34
	v_dual_sub_f32 v34, v61, v34 :: v_dual_add_f32 v17, v43, v36
	v_fmac_f32_e32 v35, 0x3f167918, v31
	v_fmac_f32_e32 v38, 0x3f737871, v58
	v_add_f32_e32 v14, v39, v28
	v_add_f32_e32 v16, v40, v30
	s_delay_alu instid0(VALU_DEP_4)
	v_dual_sub_f32 v28, v39, v28 :: v_dual_sub_f32 v29, v41, v35
	v_add_f32_e32 v15, v41, v35
	v_add_f32_e32 v19, v51, v38
	v_dual_sub_f32 v30, v40, v30 :: v_dual_sub_f32 v31, v43, v36
	v_sub_f32_e32 v33, v51, v38
	v_sub_f32_e32 v35, v50, v37
	ds_store_2addr_b64 v22, v[10:11], v[14:15] offset1:100
	ds_store_2addr_b64 v54, v[16:17], v[18:19] offset0:72 offset1:172
	ds_store_2addr_b64 v55, v[20:21], v[12:13] offset0:144 offset1:244
	;; [unrolled: 1-line block ×4, first 2 shown]
	global_wb scope:SCOPE_SE
	s_wait_dscnt 0x0
	s_barrier_signal -1
	s_barrier_wait -1
	global_inv scope:SCOPE_SE
	s_and_saveexec_b32 s7, s5
	s_cbranch_execz .LBB0_24
; %bb.23:
	v_subrev_nc_u32_e32 v10, 20, v26
	v_cmp_gt_u32_e32 vcc_lo, 0xc8, v0
	v_mov_b32_e32 v14, 0
	v_subrev_nc_u32_e32 v11, 40, v26
	s_load_b64 s[0:1], s[0:1], 0x8
	v_cndmask_b32_e32 v13, v10, v27, vcc_lo
	v_cmp_gt_u32_e32 vcc_lo, 0x190, v0
	v_dual_mov_b32 v35, v14 :: v_dual_mov_b32 v16, v14
	v_mov_b32_e32 v44, v14
	s_delay_alu instid0(VALU_DEP_4)
	v_add_nc_u32_e32 v12, 0x64, v13
	v_mul_lo_u32 v19, v2, v13
	s_wait_alu 0xfffd
	v_cndmask_b32_e32 v15, v11, v25, vcc_lo
	v_lshlrev_b64_e32 v[10:11], 3, v[13:14]
	v_sub_nc_u32_e32 v13, v27, v13
	v_mul_lo_u32 v12, v2, v12
	v_mov_b32_e32 v46, v14
	v_lshlrev_b64_e32 v[16:17], 3, v[15:16]
	v_add_nc_u32_e32 v18, 0x64, v15
	v_add_co_u32 v10, vcc_lo, s8, v10
	v_and_b32_e32 v20, 0xff, v19
	s_wait_alu 0xfffd
	v_add_co_ci_u32_e32 v11, vcc_lo, s9, v11, vcc_lo
	v_and_b32_e32 v28, 0xff, v12
	v_lshrrev_b32_e32 v12, 5, v12
	v_lshrrev_b32_e32 v21, 5, v19
	v_lshlrev_b32_e32 v29, 3, v20
	v_mul_lo_u32 v22, v2, v18
	v_lshlrev_b32_e32 v20, 3, v28
	v_and_b32_e32 v12, 0x7f8, v12
	global_load_b64 v[18:19], v[10:11], off offset:784
	v_add_co_u32 v10, vcc_lo, s8, v16
	v_mul_lo_u32 v34, v2, v15
	v_and_b32_e32 v30, 0x7f8, v21
	s_wait_alu 0xfffd
	v_add_co_ci_u32_e32 v11, vcc_lo, s9, v17, vcc_lo
	s_wait_kmcnt 0x0
	s_clause 0x3
	global_load_b64 v[16:17], v20, s[0:1]
	global_load_b64 v[20:21], v12, s[0:1] offset:2048
	global_load_b64 v[28:29], v29, s[0:1]
	global_load_b64 v[30:31], v30, s[0:1] offset:2048
	global_load_b64 v[32:33], v[10:11], off offset:784
	v_subrev_nc_u32_e32 v11, 60, v26
	v_cmp_gt_u32_e32 vcc_lo, 0x258, v0
	v_and_b32_e32 v10, 0xff, v22
	v_lshrrev_b32_e32 v12, 5, v22
	v_and_b32_e32 v22, 0xff, v34
	v_lshrrev_b32_e32 v36, 5, v34
	s_wait_alu 0xfffd
	v_dual_cndmask_b32 v34, v11, v24 :: v_dual_lshlrev_b32 v37, 3, v10
	v_and_b32_e32 v12, 0x7f8, v12
	v_lshlrev_b32_e32 v22, 3, v22
	v_and_b32_e32 v41, 0x7f8, v36
	s_delay_alu instid0(VALU_DEP_4)
	v_lshlrev_b64_e32 v[10:11], 3, v[34:35]
	s_clause 0x3
	global_load_b64 v[35:36], v37, s[0:1]
	global_load_b64 v[37:38], v12, s[0:1] offset:2048
	global_load_b64 v[39:40], v22, s[0:1]
	global_load_b64 v[41:42], v41, s[0:1] offset:2048
	v_add_nc_u32_e32 v12, 0xffffffb0, v26
	v_add_nc_u32_e32 v22, 0xffffff9c, v26
	v_sub_nc_u32_e32 v15, v25, v15
	v_add_nc_u32_e32 v13, v13, v27
	v_add_co_u32 v10, vcc_lo, s8, v10
	s_wait_alu 0xfffd
	v_add_co_ci_u32_e32 v11, vcc_lo, s9, v11, vcc_lo
	v_cmp_gt_u32_e32 vcc_lo, 0x320, v0
	v_add_nc_u32_e32 v15, v15, v25
	global_load_b64 v[49:50], v[10:11], off offset:784
	s_wait_alu 0xfffd
	v_cndmask_b32_e32 v43, v12, v23, vcc_lo
	v_cmp_gt_u32_e32 vcc_lo, 0x3e8, v0
	v_add_nc_u32_e32 v12, 0x64, v34
	s_delay_alu instid0(VALU_DEP_3) | instskip(SKIP_2) | instid1(VALU_DEP_3)
	v_lshlrev_b64_e32 v[47:48], 3, v[43:44]
	s_wait_alu 0xfffd
	v_cndmask_b32_e32 v45, v22, v26, vcc_lo
	v_mul_lo_u32 v12, v2, v12
	v_add_nc_u32_e32 v44, 0x64, v43
	v_mul_lo_u32 v22, v2, v34
	v_sub_nc_u32_e32 v34, v24, v34
	v_lshlrev_b64_e32 v[10:11], 3, v[45:46]
	v_add_co_u32 v46, vcc_lo, s8, v47
	s_wait_alu 0xfffd
	v_add_co_ci_u32_e32 v47, vcc_lo, s9, v48, vcc_lo
	v_add_nc_u32_e32 v48, 0x64, v45
	s_delay_alu instid0(VALU_DEP_4)
	v_add_co_u32 v10, vcc_lo, s8, v10
	s_wait_alu 0xfffd
	v_add_co_ci_u32_e32 v11, vcc_lo, s9, v11, vcc_lo
	global_load_b64 v[46:47], v[46:47], off offset:784
	v_mul_lo_u32 v48, v2, v48
	v_cmp_lt_u32_e32 vcc_lo, 0x3e7, v0
	global_load_b64 v[51:52], v[10:11], off offset:784
	v_mul_lo_u32 v11, v2, v44
	v_mul_lo_u32 v44, v2, v43
	v_and_b32_e32 v26, 0xff, v12
	v_lshrrev_b32_e32 v12, 5, v12
	v_and_b32_e32 v10, 0xff, v22
	v_lshrrev_b32_e32 v22, 5, v22
	v_mul_lo_u32 v2, v2, v45
	v_lshlrev_b32_e32 v26, 3, v26
	v_and_b32_e32 v61, 0xff, v11
	v_and_b32_e32 v12, 0x7f8, v12
	v_lshrrev_b32_e32 v11, 5, v11
	v_and_b32_e32 v62, 0xff, v44
	v_lshrrev_b32_e32 v44, 5, v44
	v_lshlrev_b32_e32 v10, 3, v10
	v_and_b32_e32 v22, 0x7f8, v22
	s_clause 0x3
	global_load_b64 v[53:54], v26, s[0:1]
	global_load_b64 v[55:56], v12, s[0:1] offset:2048
	global_load_b64 v[57:58], v10, s[0:1]
	global_load_b64 v[59:60], v22, s[0:1] offset:2048
	v_lshlrev_b32_e32 v10, 3, v61
	v_and_b32_e32 v26, 0xff, v48
	v_and_b32_e32 v11, 0x7f8, v11
	;; [unrolled: 1-line block ×3, first 2 shown]
	v_lshrrev_b32_e32 v44, 5, v48
	v_lshlrev_b32_e32 v12, 3, v62
	v_and_b32_e32 v48, 0xff, v2
	v_lshrrev_b32_e32 v2, 5, v2
	s_clause 0x3
	global_load_b64 v[61:62], v10, s[0:1]
	global_load_b64 v[63:64], v11, s[0:1] offset:2048
	global_load_b64 v[65:66], v12, s[0:1]
	global_load_b64 v[67:68], v22, s[0:1] offset:2048
	v_lshlrev_b32_e32 v10, 3, v26
	v_and_b32_e32 v11, 0x7f8, v44
	v_lshlrev_b32_e32 v12, 3, v48
	v_and_b32_e32 v2, 0x7f8, v2
	s_clause 0x3
	global_load_b64 v[69:70], v10, s[0:1]
	global_load_b64 v[71:72], v11, s[0:1] offset:2048
	global_load_b64 v[73:74], v12, s[0:1]
	global_load_b64 v[75:76], v2, s[0:1] offset:2048
	s_wait_alu 0xfffd
	v_cndmask_b32_e64 v2, 0, 0xc8, vcc_lo
	v_add_nc_u32_e32 v0, s6, v1
	v_sub_nc_u32_e32 v26, v23, v43
	ds_load_b64 v[77:78], v6
	ds_load_b64 v[79:80], v9
	ds_load_2addr_b64 v[9:12], v7 offset0:24 offset1:224
	v_add_nc_u32_e32 v34, v34, v24
	v_add_nc_u32_e32 v22, v45, v2
	ds_load_b64 v[81:82], v3 offset:14400
	ds_load_b64 v[83:84], v5
	ds_load_2addr_b64 v[5:8], v8 offset0:40 offset1:240
	v_add_nc_u32_e32 v26, v26, v23
	v_mad_co_u64_u32 v[1:2], null, s4, v22, v[0:1]
	v_add_nc_u32_e32 v22, 0x64, v22
	s_delay_alu instid0(VALU_DEP_3) | instskip(NEXT) | instid1(VALU_DEP_2)
	v_dual_mov_b32 v2, v14 :: v_dual_add_nc_u32 v45, 0x64, v26
	v_mad_co_u64_u32 v[22:23], null, s4, v22, v[0:1]
	v_mad_co_u64_u32 v[24:25], null, s4, v26, v[0:1]
	;; [unrolled: 1-line block ×5, first 2 shown]
	v_lshlrev_b64_e32 v[1:2], 3, v[1:2]
	v_dual_mov_b32 v23, v14 :: v_dual_add_nc_u32 v34, 0x64, v34
	v_mov_b32_e32 v25, v14
	v_dual_mov_b32 v27, v14 :: v_dual_mov_b32 v44, v14
	s_delay_alu instid0(VALU_DEP_3) | instskip(SKIP_4) | instid1(VALU_DEP_3)
	v_mad_co_u64_u32 v[89:90], null, s4, v34, v[0:1]
	v_mad_co_u64_u32 v[87:88], null, s4, v45, v[0:1]
	v_dual_mov_b32 v90, v14 :: v_dual_add_nc_u32 v13, 0x64, v13
	v_dual_mov_b32 v88, v14 :: v_dual_add_nc_u32 v15, 0x64, v15
	v_mov_b32_e32 v86, v14
	v_mad_co_u64_u32 v[93:94], null, s4, v13, v[0:1]
	v_mov_b32_e32 v94, v14
	s_delay_alu instid0(VALU_DEP_4)
	v_mad_co_u64_u32 v[91:92], null, s4, v15, v[0:1]
	v_add_co_u32 v0, vcc_lo, s2, v1
	s_wait_alu 0xfffd
	v_add_co_ci_u32_e32 v1, vcc_lo, s3, v2, vcc_lo
	v_mov_b32_e32 v92, v14
	v_lshlrev_b64_e32 v[13:14], 3, v[22:23]
	v_lshlrev_b64_e32 v[22:23], 3, v[24:25]
	;; [unrolled: 1-line block ×6, first 2 shown]
	v_add_co_u32 v13, vcc_lo, s2, v13
	s_wait_alu 0xfffd
	v_add_co_ci_u32_e32 v14, vcc_lo, s3, v14, vcc_lo
	v_add_co_u32 v22, vcc_lo, s2, v22
	s_wait_alu 0xfffd
	v_add_co_ci_u32_e32 v23, vcc_lo, s3, v23, vcc_lo
	;; [unrolled: 3-line block ×4, first 2 shown]
	v_lshlrev_b64_e32 v[87:88], 3, v[89:90]
	v_add_co_u32 v43, vcc_lo, s2, v43
	s_wait_alu 0xfffd
	v_add_co_ci_u32_e32 v44, vcc_lo, s3, v44, vcc_lo
	v_lshlrev_b64_e32 v[89:90], 3, v[91:92]
	v_add_co_u32 v85, vcc_lo, s2, v85
	s_wait_alu 0xfffd
	v_add_co_ci_u32_e32 v86, vcc_lo, s3, v86, vcc_lo
	;; [unrolled: 4-line block ×3, first 2 shown]
	v_add_co_u32 v89, vcc_lo, s2, v89
	s_wait_alu 0xfffd
	v_add_co_ci_u32_e32 v90, vcc_lo, s3, v90, vcc_lo
	s_wait_loadcnt_dscnt 0x1303
	v_mul_f32_e32 v2, v33, v11
	v_mul_f32_e32 v15, v33, v12
	v_add_co_u32 v33, vcc_lo, s2, v91
	s_wait_alu 0xfffd
	v_add_co_ci_u32_e32 v34, vcc_lo, s3, v92, vcc_lo
	s_delay_alu instid0(VALU_DEP_3)
	v_fmac_f32_e32 v15, v32, v11
	s_wait_loadcnt 0xe
	v_mul_f32_e32 v45, v50, v9
	v_mul_f32_e32 v48, v50, v10
	v_fma_f32 v50, v32, v12, -v2
	ds_load_b64 v[11:12], v4
	ds_load_b64 v[2:3], v3
	v_fma_f32 v4, v49, v10, -v45
	v_fmac_f32_e32 v48, v49, v9
	s_wait_dscnt 0x4
	v_mul_f32_e32 v9, v19, v81
	s_delay_alu instid0(VALU_DEP_1) | instskip(SKIP_2) | instid1(VALU_DEP_1)
	v_fma_f32 v9, v18, v82, -v9
	s_wait_loadcnt_dscnt 0xc02
	v_dual_mul_f32 v32, v47, v8 :: v_dual_mul_f32 v45, v52, v5
	v_fmac_f32_e32 v32, v46, v7
	s_wait_dscnt 0x1
	s_delay_alu instid0(VALU_DEP_1) | instskip(SKIP_4) | instid1(VALU_DEP_4)
	v_sub_f32_e32 v32, v11, v32
	v_mul_f32_e32 v10, v19, v82
	v_mul_f32_e32 v19, v47, v7
	;; [unrolled: 1-line block ×3, first 2 shown]
	v_fma_f32 v6, v51, v6, -v45
	v_dual_sub_f32 v45, v84, v4 :: v_dual_fmac_f32 v10, v18, v81
	s_delay_alu instid0(VALU_DEP_4) | instskip(NEXT) | instid1(VALU_DEP_4)
	v_fma_f32 v8, v46, v8, -v19
	v_fmac_f32_e32 v47, v51, v5
	v_dual_sub_f32 v5, v78, v9 :: v_dual_sub_f32 v46, v83, v48
	s_delay_alu instid0(VALU_DEP_4)
	v_sub_f32_e32 v7, v77, v10
	s_wait_dscnt 0x0
	v_dual_sub_f32 v49, v3, v6 :: v_dual_mul_f32 v4, v17, v21
	v_mul_f32_e32 v6, v16, v21
	s_wait_loadcnt 0x8
	v_dual_mul_f32 v10, v28, v31 :: v_dual_mul_f32 v51, v57, v60
	v_sub_f32_e32 v48, v12, v8
	v_dual_mul_f32 v8, v29, v31 :: v_dual_sub_f32 v9, v80, v50
	v_sub_f32_e32 v47, v2, v47
	v_mul_f32_e32 v19, v35, v38
	v_mul_f32_e32 v21, v40, v42
	v_dual_mul_f32 v31, v39, v42 :: v_dual_mul_f32 v42, v53, v56
	v_mul_f32_e32 v50, v58, v60
	v_fma_f32 v16, v16, v20, -v4
	v_fmac_f32_e32 v6, v17, v20
	s_wait_loadcnt 0x6
	v_mul_f32_e32 v4, v62, v64
	v_mul_f32_e32 v17, v61, v64
	s_wait_loadcnt 0x0
	v_dual_fmac_f32 v10, v29, v30 :: v_dual_mul_f32 v29, v74, v76
	v_fma_f32 v60, v78, 2.0, -v5
	v_fma_f32 v64, v77, 2.0, -v7
	;; [unrolled: 1-line block ×4, first 2 shown]
	v_dual_sub_f32 v18, v79, v15 :: v_dual_mul_f32 v15, v36, v38
	v_dual_mul_f32 v76, v73, v76 :: v_dual_fmac_f32 v51, v58, v59
	v_mul_f32_e32 v38, v54, v56
	v_mul_f32_e32 v52, v65, v68
	v_fma_f32 v56, v28, v30, -v8
	v_mul_f32_e32 v28, v69, v72
	v_mul_f32_e32 v20, v66, v68
	;; [unrolled: 1-line block ×3, first 2 shown]
	v_fma_f32 v68, v80, 2.0, -v9
	v_fma_f32 v72, v79, 2.0, -v18
	;; [unrolled: 1-line block ×5, first 2 shown]
	v_fma_f32 v11, v35, v37, -v15
	v_fmac_f32_e32 v19, v36, v37
	v_dual_fmac_f32 v31, v40, v41 :: v_dual_fmac_f32 v42, v54, v55
	v_fma_f32 v36, v57, v59, -v50
	v_fma_f32 v40, v73, v75, -v29
	v_dual_fmac_f32 v76, v75, v74 :: v_dual_mul_f32 v15, v77, v51
	v_fma_f32 v12, v12, 2.0, -v48
	v_fmac_f32_e32 v52, v66, v67
	v_fmac_f32_e32 v28, v70, v71
	;; [unrolled: 1-line block ×4, first 2 shown]
	v_fma_f32 v21, v39, v41, -v21
	v_fma_f32 v35, v53, v55, -v38
	;; [unrolled: 1-line block ×4, first 2 shown]
	v_mul_f32_e32 v20, v7, v6
	v_dual_mul_f32 v2, v5, v6 :: v_dual_mul_f32 v41, v18, v19
	v_mul_f32_e32 v6, v9, v19
	v_mul_f32_e32 v50, v72, v31
	v_dual_mul_f32 v8, v68, v31 :: v_dual_mul_f32 v31, v46, v42
	v_mul_f32_e32 v54, v76, v3
	v_mul_f32_e32 v30, v40, v3
	;; [unrolled: 1-line block ×7, first 2 shown]
	v_fma_f32 v37, v61, v63, -v4
	v_mul_f32_e32 v4, v60, v10
	v_mul_f32_e32 v10, v45, v42
	v_dual_mul_f32 v42, v78, v51 :: v_dual_mul_f32 v51, v32, v17
	v_dual_mul_f32 v17, v48, v17 :: v_dual_fmac_f32 v2, v7, v16
	v_fma_f32 v7, v9, v11, -v41
	v_fmac_f32_e32 v6, v18, v11
	v_fma_f32 v11, v45, v35, -v31
	v_fma_f32 v31, v80, v40, -v54
	v_fmac_f32_e32 v30, v80, v76
	v_fma_f32 v3, v5, v16, -v20
	v_fma_f32 v5, v60, v56, -v29
	;; [unrolled: 1-line block ×3, first 2 shown]
	v_fmac_f32_e32 v28, v47, v39
	v_fma_f32 v20, v12, v38, -v53
	v_fmac_f32_e32 v19, v79, v38
	v_fma_f32 v18, v48, v37, -v51
	;; [unrolled: 2-line block ×4, first 2 shown]
	v_fmac_f32_e32 v8, v72, v21
	v_fmac_f32_e32 v10, v46, v35
	s_clause 0x9
	global_store_b64 v[0:1], v[30:31], off
	global_store_b64 v[13:14], v[28:29], off
	;; [unrolled: 1-line block ×10, first 2 shown]
.LBB0_24:
	s_nop 0
	s_sendmsg sendmsg(MSG_DEALLOC_VGPRS)
	s_endpgm
	.section	.rodata,"a",@progbits
	.p2align	6, 0x0
	.amdhsa_kernel fft_rtc_back_len200_factors_2_5_10_2_wgs_200_tpt_20_dim2_sp_ip_CI_sbcc_twdbase8_2step_dirReg_intrinsicReadWrite
		.amdhsa_group_segment_fixed_size 0
		.amdhsa_private_segment_fixed_size 0
		.amdhsa_kernarg_size 88
		.amdhsa_user_sgpr_count 2
		.amdhsa_user_sgpr_dispatch_ptr 0
		.amdhsa_user_sgpr_queue_ptr 0
		.amdhsa_user_sgpr_kernarg_segment_ptr 1
		.amdhsa_user_sgpr_dispatch_id 0
		.amdhsa_user_sgpr_private_segment_size 0
		.amdhsa_wavefront_size32 1
		.amdhsa_uses_dynamic_stack 0
		.amdhsa_enable_private_segment 0
		.amdhsa_system_sgpr_workgroup_id_x 1
		.amdhsa_system_sgpr_workgroup_id_y 0
		.amdhsa_system_sgpr_workgroup_id_z 0
		.amdhsa_system_sgpr_workgroup_info 0
		.amdhsa_system_vgpr_workitem_id 0
		.amdhsa_next_free_vgpr 95
		.amdhsa_next_free_sgpr 20
		.amdhsa_reserve_vcc 1
		.amdhsa_float_round_mode_32 0
		.amdhsa_float_round_mode_16_64 0
		.amdhsa_float_denorm_mode_32 3
		.amdhsa_float_denorm_mode_16_64 3
		.amdhsa_fp16_overflow 0
		.amdhsa_workgroup_processor_mode 1
		.amdhsa_memory_ordered 1
		.amdhsa_forward_progress 0
		.amdhsa_round_robin_scheduling 0
		.amdhsa_exception_fp_ieee_invalid_op 0
		.amdhsa_exception_fp_denorm_src 0
		.amdhsa_exception_fp_ieee_div_zero 0
		.amdhsa_exception_fp_ieee_overflow 0
		.amdhsa_exception_fp_ieee_underflow 0
		.amdhsa_exception_fp_ieee_inexact 0
		.amdhsa_exception_int_div_zero 0
	.end_amdhsa_kernel
	.text
.Lfunc_end0:
	.size	fft_rtc_back_len200_factors_2_5_10_2_wgs_200_tpt_20_dim2_sp_ip_CI_sbcc_twdbase8_2step_dirReg_intrinsicReadWrite, .Lfunc_end0-fft_rtc_back_len200_factors_2_5_10_2_wgs_200_tpt_20_dim2_sp_ip_CI_sbcc_twdbase8_2step_dirReg_intrinsicReadWrite
                                        ; -- End function
	.section	.AMDGPU.csdata,"",@progbits
; Kernel info:
; codeLenInByte = 6784
; NumSgprs: 22
; NumVgprs: 95
; ScratchSize: 0
; MemoryBound: 0
; FloatMode: 240
; IeeeMode: 1
; LDSByteSize: 0 bytes/workgroup (compile time only)
; SGPRBlocks: 2
; VGPRBlocks: 11
; NumSGPRsForWavesPerEU: 22
; NumVGPRsForWavesPerEU: 95
; Occupancy: 16
; WaveLimiterHint : 1
; COMPUTE_PGM_RSRC2:SCRATCH_EN: 0
; COMPUTE_PGM_RSRC2:USER_SGPR: 2
; COMPUTE_PGM_RSRC2:TRAP_HANDLER: 0
; COMPUTE_PGM_RSRC2:TGID_X_EN: 1
; COMPUTE_PGM_RSRC2:TGID_Y_EN: 0
; COMPUTE_PGM_RSRC2:TGID_Z_EN: 0
; COMPUTE_PGM_RSRC2:TIDIG_COMP_CNT: 0
	.text
	.p2alignl 7, 3214868480
	.fill 96, 4, 3214868480
	.type	__hip_cuid_473173e8705152c5,@object ; @__hip_cuid_473173e8705152c5
	.section	.bss,"aw",@nobits
	.globl	__hip_cuid_473173e8705152c5
__hip_cuid_473173e8705152c5:
	.byte	0                               ; 0x0
	.size	__hip_cuid_473173e8705152c5, 1

	.ident	"AMD clang version 19.0.0git (https://github.com/RadeonOpenCompute/llvm-project roc-6.4.0 25133 c7fe45cf4b819c5991fe208aaa96edf142730f1d)"
	.section	".note.GNU-stack","",@progbits
	.addrsig
	.addrsig_sym __hip_cuid_473173e8705152c5
	.amdgpu_metadata
---
amdhsa.kernels:
  - .args:
      - .actual_access:  read_only
        .address_space:  global
        .offset:         0
        .size:           8
        .value_kind:     global_buffer
      - .address_space:  global
        .offset:         8
        .size:           8
        .value_kind:     global_buffer
      - .actual_access:  read_only
        .address_space:  global
        .offset:         16
        .size:           8
        .value_kind:     global_buffer
      - .actual_access:  read_only
        .address_space:  global
        .offset:         24
        .size:           8
        .value_kind:     global_buffer
      - .offset:         32
        .size:           8
        .value_kind:     by_value
      - .actual_access:  read_only
        .address_space:  global
        .offset:         40
        .size:           8
        .value_kind:     global_buffer
      - .actual_access:  read_only
        .address_space:  global
        .offset:         48
        .size:           8
        .value_kind:     global_buffer
      - .offset:         56
        .size:           4
        .value_kind:     by_value
      - .actual_access:  read_only
        .address_space:  global
        .offset:         64
        .size:           8
        .value_kind:     global_buffer
      - .actual_access:  read_only
        .address_space:  global
        .offset:         72
        .size:           8
        .value_kind:     global_buffer
      - .address_space:  global
        .offset:         80
        .size:           8
        .value_kind:     global_buffer
    .group_segment_fixed_size: 0
    .kernarg_segment_align: 8
    .kernarg_segment_size: 88
    .language:       OpenCL C
    .language_version:
      - 2
      - 0
    .max_flat_workgroup_size: 200
    .name:           fft_rtc_back_len200_factors_2_5_10_2_wgs_200_tpt_20_dim2_sp_ip_CI_sbcc_twdbase8_2step_dirReg_intrinsicReadWrite
    .private_segment_fixed_size: 0
    .sgpr_count:     22
    .sgpr_spill_count: 0
    .symbol:         fft_rtc_back_len200_factors_2_5_10_2_wgs_200_tpt_20_dim2_sp_ip_CI_sbcc_twdbase8_2step_dirReg_intrinsicReadWrite.kd
    .uniform_work_group_size: 1
    .uses_dynamic_stack: false
    .vgpr_count:     95
    .vgpr_spill_count: 0
    .wavefront_size: 32
    .workgroup_processor_mode: 1
amdhsa.target:   amdgcn-amd-amdhsa--gfx1201
amdhsa.version:
  - 1
  - 2
...

	.end_amdgpu_metadata
